;; amdgpu-corpus repo=ROCm/rocFFT kind=compiled arch=gfx906 opt=O3
	.text
	.amdgcn_target "amdgcn-amd-amdhsa--gfx906"
	.amdhsa_code_object_version 6
	.protected	fft_rtc_fwd_len810_factors_3_10_3_3_3_wgs_81_tpt_81_halfLds_sp_op_CI_CI_unitstride_sbrr_C2R_dirReg ; -- Begin function fft_rtc_fwd_len810_factors_3_10_3_3_3_wgs_81_tpt_81_halfLds_sp_op_CI_CI_unitstride_sbrr_C2R_dirReg
	.globl	fft_rtc_fwd_len810_factors_3_10_3_3_3_wgs_81_tpt_81_halfLds_sp_op_CI_CI_unitstride_sbrr_C2R_dirReg
	.p2align	8
	.type	fft_rtc_fwd_len810_factors_3_10_3_3_3_wgs_81_tpt_81_halfLds_sp_op_CI_CI_unitstride_sbrr_C2R_dirReg,@function
fft_rtc_fwd_len810_factors_3_10_3_3_3_wgs_81_tpt_81_halfLds_sp_op_CI_CI_unitstride_sbrr_C2R_dirReg: ; @fft_rtc_fwd_len810_factors_3_10_3_3_3_wgs_81_tpt_81_halfLds_sp_op_CI_CI_unitstride_sbrr_C2R_dirReg
; %bb.0:
	s_load_dwordx4 s[8:11], s[4:5], 0x58
	s_load_dwordx4 s[12:15], s[4:5], 0x0
	;; [unrolled: 1-line block ×3, first 2 shown]
	v_mul_u32_u24_e32 v1, 0x32a, v0
	v_add_u32_sdwa v5, s6, v1 dst_sel:DWORD dst_unused:UNUSED_PAD src0_sel:DWORD src1_sel:WORD_1
	v_mov_b32_e32 v3, 0
	s_waitcnt lgkmcnt(0)
	v_cmp_lt_u64_e64 s[0:1], s[14:15], 2
	v_mov_b32_e32 v1, 0
	v_mov_b32_e32 v6, v3
	s_and_b64 vcc, exec, s[0:1]
	v_mov_b32_e32 v2, 0
	s_cbranch_vccnz .LBB0_8
; %bb.1:
	s_load_dwordx2 s[0:1], s[4:5], 0x10
	s_add_u32 s2, s18, 8
	s_addc_u32 s3, s19, 0
	s_add_u32 s6, s16, 8
	v_mov_b32_e32 v1, 0
	s_addc_u32 s7, s17, 0
	v_mov_b32_e32 v2, 0
	s_waitcnt lgkmcnt(0)
	s_add_u32 s20, s0, 8
	v_mov_b32_e32 v17, v2
	s_addc_u32 s21, s1, 0
	s_mov_b64 s[22:23], 1
	v_mov_b32_e32 v16, v1
.LBB0_2:                                ; =>This Inner Loop Header: Depth=1
	s_load_dwordx2 s[24:25], s[20:21], 0x0
                                        ; implicit-def: $vgpr18_vgpr19
	s_waitcnt lgkmcnt(0)
	v_or_b32_e32 v4, s25, v6
	v_cmp_ne_u64_e32 vcc, 0, v[3:4]
	s_and_saveexec_b64 s[0:1], vcc
	s_xor_b64 s[26:27], exec, s[0:1]
	s_cbranch_execz .LBB0_4
; %bb.3:                                ;   in Loop: Header=BB0_2 Depth=1
	v_cvt_f32_u32_e32 v4, s24
	v_cvt_f32_u32_e32 v7, s25
	s_sub_u32 s0, 0, s24
	s_subb_u32 s1, 0, s25
	v_mac_f32_e32 v4, 0x4f800000, v7
	v_rcp_f32_e32 v4, v4
	v_mul_f32_e32 v4, 0x5f7ffffc, v4
	v_mul_f32_e32 v7, 0x2f800000, v4
	v_trunc_f32_e32 v7, v7
	v_mac_f32_e32 v4, 0xcf800000, v7
	v_cvt_u32_f32_e32 v7, v7
	v_cvt_u32_f32_e32 v4, v4
	v_mul_lo_u32 v8, s0, v7
	v_mul_hi_u32 v9, s0, v4
	v_mul_lo_u32 v11, s1, v4
	v_mul_lo_u32 v10, s0, v4
	v_add_u32_e32 v8, v9, v8
	v_add_u32_e32 v8, v8, v11
	v_mul_hi_u32 v9, v4, v10
	v_mul_lo_u32 v11, v4, v8
	v_mul_hi_u32 v13, v4, v8
	v_mul_hi_u32 v12, v7, v10
	v_mul_lo_u32 v10, v7, v10
	v_mul_hi_u32 v14, v7, v8
	v_add_co_u32_e32 v9, vcc, v9, v11
	v_addc_co_u32_e32 v11, vcc, 0, v13, vcc
	v_mul_lo_u32 v8, v7, v8
	v_add_co_u32_e32 v9, vcc, v9, v10
	v_addc_co_u32_e32 v9, vcc, v11, v12, vcc
	v_addc_co_u32_e32 v10, vcc, 0, v14, vcc
	v_add_co_u32_e32 v8, vcc, v9, v8
	v_addc_co_u32_e32 v9, vcc, 0, v10, vcc
	v_add_co_u32_e32 v4, vcc, v4, v8
	v_addc_co_u32_e32 v7, vcc, v7, v9, vcc
	v_mul_lo_u32 v8, s0, v7
	v_mul_hi_u32 v9, s0, v4
	v_mul_lo_u32 v10, s1, v4
	v_mul_lo_u32 v11, s0, v4
	v_add_u32_e32 v8, v9, v8
	v_add_u32_e32 v8, v8, v10
	v_mul_lo_u32 v12, v4, v8
	v_mul_hi_u32 v13, v4, v11
	v_mul_hi_u32 v14, v4, v8
	v_mul_hi_u32 v10, v7, v11
	v_mul_lo_u32 v11, v7, v11
	v_mul_hi_u32 v9, v7, v8
	v_add_co_u32_e32 v12, vcc, v13, v12
	v_addc_co_u32_e32 v13, vcc, 0, v14, vcc
	v_mul_lo_u32 v8, v7, v8
	v_add_co_u32_e32 v11, vcc, v12, v11
	v_addc_co_u32_e32 v10, vcc, v13, v10, vcc
	v_addc_co_u32_e32 v9, vcc, 0, v9, vcc
	v_add_co_u32_e32 v8, vcc, v10, v8
	v_addc_co_u32_e32 v9, vcc, 0, v9, vcc
	v_add_co_u32_e32 v4, vcc, v4, v8
	v_addc_co_u32_e32 v9, vcc, v7, v9, vcc
	v_mad_u64_u32 v[7:8], s[0:1], v5, v9, 0
	v_mul_hi_u32 v10, v5, v4
	v_add_co_u32_e32 v11, vcc, v10, v7
	v_addc_co_u32_e32 v12, vcc, 0, v8, vcc
	v_mad_u64_u32 v[7:8], s[0:1], v6, v4, 0
	v_mad_u64_u32 v[9:10], s[0:1], v6, v9, 0
	v_add_co_u32_e32 v4, vcc, v11, v7
	v_addc_co_u32_e32 v4, vcc, v12, v8, vcc
	v_addc_co_u32_e32 v7, vcc, 0, v10, vcc
	v_add_co_u32_e32 v4, vcc, v4, v9
	v_addc_co_u32_e32 v9, vcc, 0, v7, vcc
	v_mul_lo_u32 v10, s25, v4
	v_mul_lo_u32 v11, s24, v9
	v_mad_u64_u32 v[7:8], s[0:1], s24, v4, 0
	v_add3_u32 v8, v8, v11, v10
	v_sub_u32_e32 v10, v6, v8
	v_mov_b32_e32 v11, s25
	v_sub_co_u32_e32 v7, vcc, v5, v7
	v_subb_co_u32_e64 v10, s[0:1], v10, v11, vcc
	v_subrev_co_u32_e64 v11, s[0:1], s24, v7
	v_subbrev_co_u32_e64 v10, s[0:1], 0, v10, s[0:1]
	v_cmp_le_u32_e64 s[0:1], s25, v10
	v_cndmask_b32_e64 v12, 0, -1, s[0:1]
	v_cmp_le_u32_e64 s[0:1], s24, v11
	v_cndmask_b32_e64 v11, 0, -1, s[0:1]
	v_cmp_eq_u32_e64 s[0:1], s25, v10
	v_cndmask_b32_e64 v10, v12, v11, s[0:1]
	v_add_co_u32_e64 v11, s[0:1], 2, v4
	v_addc_co_u32_e64 v12, s[0:1], 0, v9, s[0:1]
	v_add_co_u32_e64 v13, s[0:1], 1, v4
	v_addc_co_u32_e64 v14, s[0:1], 0, v9, s[0:1]
	v_subb_co_u32_e32 v8, vcc, v6, v8, vcc
	v_cmp_ne_u32_e64 s[0:1], 0, v10
	v_cmp_le_u32_e32 vcc, s25, v8
	v_cndmask_b32_e64 v10, v14, v12, s[0:1]
	v_cndmask_b32_e64 v12, 0, -1, vcc
	v_cmp_le_u32_e32 vcc, s24, v7
	v_cndmask_b32_e64 v7, 0, -1, vcc
	v_cmp_eq_u32_e32 vcc, s25, v8
	v_cndmask_b32_e32 v7, v12, v7, vcc
	v_cmp_ne_u32_e32 vcc, 0, v7
	v_cndmask_b32_e64 v7, v13, v11, s[0:1]
	v_cndmask_b32_e32 v19, v9, v10, vcc
	v_cndmask_b32_e32 v18, v4, v7, vcc
.LBB0_4:                                ;   in Loop: Header=BB0_2 Depth=1
	s_andn2_saveexec_b64 s[0:1], s[26:27]
	s_cbranch_execz .LBB0_6
; %bb.5:                                ;   in Loop: Header=BB0_2 Depth=1
	v_cvt_f32_u32_e32 v4, s24
	s_sub_i32 s26, 0, s24
	v_mov_b32_e32 v19, v3
	v_rcp_iflag_f32_e32 v4, v4
	v_mul_f32_e32 v4, 0x4f7ffffe, v4
	v_cvt_u32_f32_e32 v4, v4
	v_mul_lo_u32 v7, s26, v4
	v_mul_hi_u32 v7, v4, v7
	v_add_u32_e32 v4, v4, v7
	v_mul_hi_u32 v4, v5, v4
	v_mul_lo_u32 v7, v4, s24
	v_add_u32_e32 v8, 1, v4
	v_sub_u32_e32 v7, v5, v7
	v_subrev_u32_e32 v9, s24, v7
	v_cmp_le_u32_e32 vcc, s24, v7
	v_cndmask_b32_e32 v7, v7, v9, vcc
	v_cndmask_b32_e32 v4, v4, v8, vcc
	v_add_u32_e32 v8, 1, v4
	v_cmp_le_u32_e32 vcc, s24, v7
	v_cndmask_b32_e32 v18, v4, v8, vcc
.LBB0_6:                                ;   in Loop: Header=BB0_2 Depth=1
	s_or_b64 exec, exec, s[0:1]
	v_mul_lo_u32 v4, v19, s24
	v_mul_lo_u32 v9, v18, s25
	v_mad_u64_u32 v[7:8], s[0:1], v18, s24, 0
	s_load_dwordx2 s[0:1], s[6:7], 0x0
	s_load_dwordx2 s[24:25], s[2:3], 0x0
	v_add3_u32 v4, v8, v9, v4
	v_sub_co_u32_e32 v5, vcc, v5, v7
	v_subb_co_u32_e32 v4, vcc, v6, v4, vcc
	s_waitcnt lgkmcnt(0)
	v_mul_lo_u32 v6, s0, v4
	v_mul_lo_u32 v7, s1, v5
	v_mad_u64_u32 v[1:2], s[0:1], s0, v5, v[1:2]
	v_mul_lo_u32 v4, s24, v4
	v_mul_lo_u32 v8, s25, v5
	v_mad_u64_u32 v[16:17], s[0:1], s24, v5, v[16:17]
	s_add_u32 s22, s22, 1
	s_addc_u32 s23, s23, 0
	s_add_u32 s2, s2, 8
	v_add3_u32 v17, v8, v17, v4
	s_addc_u32 s3, s3, 0
	v_mov_b32_e32 v4, s14
	s_add_u32 s6, s6, 8
	v_mov_b32_e32 v5, s15
	s_addc_u32 s7, s7, 0
	v_cmp_ge_u64_e32 vcc, s[22:23], v[4:5]
	s_add_u32 s20, s20, 8
	v_add3_u32 v2, v7, v2, v6
	s_addc_u32 s21, s21, 0
	s_cbranch_vccnz .LBB0_9
; %bb.7:                                ;   in Loop: Header=BB0_2 Depth=1
	v_mov_b32_e32 v5, v18
	v_mov_b32_e32 v6, v19
	s_branch .LBB0_2
.LBB0_8:
	v_mov_b32_e32 v17, v2
	v_mov_b32_e32 v19, v6
	;; [unrolled: 1-line block ×4, first 2 shown]
.LBB0_9:
	s_load_dwordx2 s[2:3], s[4:5], 0x28
	s_lshl_b64 s[6:7], s[14:15], 3
	s_add_u32 s4, s18, s6
	s_addc_u32 s5, s19, s7
                                        ; implicit-def: $vgpr20
	s_waitcnt lgkmcnt(0)
	v_cmp_gt_u64_e64 s[0:1], s[2:3], v[18:19]
	v_cmp_le_u64_e32 vcc, s[2:3], v[18:19]
	s_and_saveexec_b64 s[2:3], vcc
	s_xor_b64 s[2:3], exec, s[2:3]
; %bb.10:
	s_mov_b32 s14, 0x3291620
	v_mul_hi_u32 v1, v0, s14
	v_mul_u32_u24_e32 v1, 0x51, v1
	v_sub_u32_e32 v20, v0, v1
                                        ; implicit-def: $vgpr0
                                        ; implicit-def: $vgpr1_vgpr2
; %bb.11:
	s_or_saveexec_b64 s[2:3], s[2:3]
	s_load_dwordx2 s[4:5], s[4:5], 0x0
	s_xor_b64 exec, exec, s[2:3]
	s_cbranch_execz .LBB0_15
; %bb.12:
	s_add_u32 s6, s16, s6
	s_addc_u32 s7, s17, s7
	s_load_dwordx2 s[6:7], s[6:7], 0x0
	s_mov_b32 s14, 0x3291620
	v_mul_hi_u32 v5, v0, s14
	v_lshlrev_b64 v[1:2], 3, v[1:2]
	s_waitcnt lgkmcnt(0)
	v_mul_lo_u32 v6, s7, v18
	v_mul_lo_u32 v7, s6, v19
	v_mad_u64_u32 v[3:4], s[6:7], s6, v18, 0
	v_mul_u32_u24_e32 v5, 0x51, v5
	v_sub_u32_e32 v20, v0, v5
	v_add3_u32 v4, v4, v7, v6
	v_lshlrev_b64 v[3:4], 3, v[3:4]
	v_mov_b32_e32 v0, s9
	v_add_co_u32_e32 v3, vcc, s8, v3
	v_addc_co_u32_e32 v0, vcc, v0, v4, vcc
	v_add_co_u32_e32 v1, vcc, v3, v1
	v_addc_co_u32_e32 v0, vcc, v0, v2, vcc
	v_lshlrev_b32_e32 v31, 3, v20
	v_add_co_u32_e32 v2, vcc, v1, v31
	v_addc_co_u32_e32 v3, vcc, 0, v0, vcc
	v_add_co_u32_e32 v12, vcc, 0x1000, v2
	global_load_dwordx2 v[4:5], v[2:3], off
	global_load_dwordx2 v[6:7], v[2:3], off offset:648
	global_load_dwordx2 v[8:9], v[2:3], off offset:1296
	;; [unrolled: 1-line block ×3, first 2 shown]
	v_addc_co_u32_e32 v13, vcc, 0, v3, vcc
	global_load_dwordx2 v[14:15], v[2:3], off offset:2592
	global_load_dwordx2 v[21:22], v[2:3], off offset:3240
	;; [unrolled: 1-line block ×6, first 2 shown]
	s_movk_i32 s6, 0x50
	v_add_u32_e32 v2, 0, v31
	v_cmp_eq_u32_e32 vcc, s6, v20
	v_add_u32_e32 v3, 0x800, v2
	v_add_u32_e32 v12, 0xc00, v2
	;; [unrolled: 1-line block ×3, first 2 shown]
	s_waitcnt vmcnt(8)
	ds_write2_b64 v2, v[4:5], v[6:7] offset1:81
	s_waitcnt vmcnt(6)
	ds_write2_b64 v2, v[8:9], v[10:11] offset0:162 offset1:243
	s_waitcnt vmcnt(4)
	ds_write2_b64 v3, v[14:15], v[21:22] offset0:68 offset1:149
	;; [unrolled: 2-line block ×4, first 2 shown]
	s_and_saveexec_b64 s[6:7], vcc
	s_cbranch_execz .LBB0_14
; %bb.13:
	v_add_co_u32_e32 v1, vcc, 0x1000, v1
	v_addc_co_u32_e32 v2, vcc, 0, v0, vcc
	global_load_dwordx2 v[0:1], v[1:2], off offset:2384
	v_mov_b32_e32 v2, 0
	v_mov_b32_e32 v20, 0x50
	s_waitcnt vmcnt(0)
	ds_write_b64 v2, v[0:1] offset:6480
.LBB0_14:
	s_or_b64 exec, exec, s[6:7]
.LBB0_15:
	s_or_b64 exec, exec, s[2:3]
	v_lshlrev_b32_e32 v0, 3, v20
	v_add_u32_e32 v33, 0, v0
	s_waitcnt lgkmcnt(0)
	s_barrier
	v_sub_u32_e32 v4, 0, v0
	ds_read_b32 v5, v33
	ds_read_b32 v6, v4 offset:6480
	s_add_u32 s6, s12, 0x1938
	s_addc_u32 s7, s13, 0
	v_cmp_ne_u32_e32 vcc, 0, v20
                                        ; implicit-def: $vgpr2_vgpr3
	s_waitcnt lgkmcnt(0)
	v_add_f32_e32 v0, v6, v5
	v_sub_f32_e32 v1, v5, v6
	s_and_saveexec_b64 s[2:3], vcc
	s_xor_b64 s[2:3], exec, s[2:3]
	s_cbranch_execz .LBB0_17
; %bb.16:
	v_mov_b32_e32 v21, 0
	v_lshlrev_b64 v[0:1], 3, v[20:21]
	v_mov_b32_e32 v2, s7
	v_add_co_u32_e32 v0, vcc, s6, v0
	v_addc_co_u32_e32 v1, vcc, v2, v1, vcc
	global_load_dwordx2 v[2:3], v[0:1], off
	ds_read_b32 v0, v4 offset:6484
	ds_read_b32 v1, v33 offset:4
	v_add_f32_e32 v7, v6, v5
	v_sub_f32_e32 v8, v5, v6
	s_waitcnt lgkmcnt(0)
	v_add_f32_e32 v9, v0, v1
	v_sub_f32_e32 v0, v1, v0
	s_waitcnt vmcnt(0)
	v_fma_f32 v10, v8, v3, v7
	v_fma_f32 v1, v9, v3, v0
	v_fma_f32 v5, -v8, v3, v7
	v_fma_f32 v6, v9, v3, -v0
	v_fma_f32 v0, -v2, v9, v10
	v_fmac_f32_e32 v1, v8, v2
	v_fmac_f32_e32 v5, v2, v9
	;; [unrolled: 1-line block ×3, first 2 shown]
	v_mov_b32_e32 v2, v20
	ds_write_b64 v4, v[5:6] offset:6480
	v_mov_b32_e32 v3, v21
.LBB0_17:
	s_andn2_saveexec_b64 s[2:3], s[2:3]
	s_cbranch_execz .LBB0_19
; %bb.18:
	v_mov_b32_e32 v7, 0
	ds_read_b64 v[2:3], v7 offset:3240
	s_waitcnt lgkmcnt(0)
	v_add_f32_e32 v5, v2, v2
	v_mul_f32_e32 v6, -2.0, v3
	v_mov_b32_e32 v2, 0
	v_mov_b32_e32 v3, 0
	ds_write_b64 v7, v[5:6] offset:3240
.LBB0_19:
	s_or_b64 exec, exec, s[2:3]
	v_lshlrev_b64 v[2:3], 3, v[2:3]
	v_mov_b32_e32 v5, s7
	v_add_co_u32_e32 v2, vcc, s6, v2
	v_addc_co_u32_e32 v3, vcc, v5, v3, vcc
	global_load_dwordx2 v[5:6], v[2:3], off offset:648
	global_load_dwordx2 v[7:8], v[2:3], off offset:1296
	;; [unrolled: 1-line block ×4, first 2 shown]
	ds_write_b64 v33, v[0:1]
	ds_read_b64 v[0:1], v33 offset:648
	ds_read_b64 v[2:3], v4 offset:5832
	v_cmp_gt_u32_e32 vcc, 27, v20
	s_waitcnt lgkmcnt(0)
	v_add_f32_e32 v11, v0, v2
	v_add_f32_e32 v12, v3, v1
	v_sub_f32_e32 v13, v0, v2
	v_sub_f32_e32 v0, v1, v3
	s_waitcnt vmcnt(3)
	v_fma_f32 v14, v13, v6, v11
	v_fma_f32 v1, v12, v6, v0
	v_fma_f32 v2, -v13, v6, v11
	v_fma_f32 v3, v12, v6, -v0
	v_fma_f32 v0, -v5, v12, v14
	v_fmac_f32_e32 v1, v13, v5
	v_fmac_f32_e32 v2, v5, v12
	;; [unrolled: 1-line block ×3, first 2 shown]
	ds_write_b64 v33, v[0:1] offset:648
	ds_write_b64 v4, v[2:3] offset:5832
	ds_read_b64 v[0:1], v33 offset:1296
	ds_read_b64 v[2:3], v4 offset:5184
	v_add_u32_e32 v13, 0x1000, v33
	v_add_u32_e32 v14, 0xc00, v33
	s_waitcnt lgkmcnt(0)
	v_add_f32_e32 v5, v0, v2
	v_add_f32_e32 v6, v3, v1
	v_sub_f32_e32 v11, v0, v2
	v_sub_f32_e32 v0, v1, v3
	s_waitcnt vmcnt(2)
	v_fma_f32 v12, v11, v8, v5
	v_fma_f32 v1, v6, v8, v0
	v_fma_f32 v2, -v11, v8, v5
	v_fma_f32 v3, v6, v8, -v0
	v_fma_f32 v0, -v7, v6, v12
	v_fmac_f32_e32 v1, v11, v7
	v_fmac_f32_e32 v2, v7, v6
	;; [unrolled: 1-line block ×3, first 2 shown]
	ds_write_b64 v33, v[0:1] offset:1296
	ds_write_b64 v4, v[2:3] offset:5184
	ds_read_b64 v[0:1], v33 offset:1944
	ds_read_b64 v[2:3], v4 offset:4536
	v_add_u32_e32 v12, 0x800, v33
	s_waitcnt lgkmcnt(0)
	v_add_f32_e32 v5, v0, v2
	v_add_f32_e32 v6, v3, v1
	v_sub_f32_e32 v7, v0, v2
	v_sub_f32_e32 v0, v1, v3
	s_waitcnt vmcnt(1)
	v_fma_f32 v8, v7, v10, v5
	v_fma_f32 v1, v6, v10, v0
	v_fma_f32 v2, -v7, v10, v5
	v_fma_f32 v3, v6, v10, -v0
	v_fma_f32 v0, -v9, v6, v8
	v_fmac_f32_e32 v1, v7, v9
	v_fmac_f32_e32 v2, v9, v6
	;; [unrolled: 1-line block ×3, first 2 shown]
	ds_write_b64 v33, v[0:1] offset:1944
	ds_write_b64 v4, v[2:3] offset:4536
	ds_read_b64 v[0:1], v33 offset:2592
	ds_read_b64 v[2:3], v4 offset:3888
	v_lshlrev_b32_e32 v6, 4, v20
	v_add_u32_e32 v15, v33, v6
	v_add_u32_e32 v5, 0x1400, v33
	s_waitcnt lgkmcnt(0)
	v_add_f32_e32 v6, v0, v2
	v_add_f32_e32 v7, v3, v1
	v_sub_f32_e32 v8, v0, v2
	v_sub_f32_e32 v0, v1, v3
	s_waitcnt vmcnt(0)
	v_fma_f32 v9, v8, v22, v6
	v_fma_f32 v1, v7, v22, v0
	v_fma_f32 v2, -v8, v22, v6
	v_fma_f32 v3, v7, v22, -v0
	v_fma_f32 v0, -v21, v7, v9
	v_fmac_f32_e32 v1, v8, v21
	v_fmac_f32_e32 v2, v21, v7
	;; [unrolled: 1-line block ×3, first 2 shown]
	ds_write_b64 v33, v[0:1] offset:2592
	ds_write_b64 v4, v[2:3] offset:3888
	s_waitcnt lgkmcnt(0)
	s_barrier
	s_barrier
	ds_read2_b64 v[21:24], v33 offset1:81
	ds_read2_b64 v[25:28], v12 offset0:14 offset1:95
	ds_read2_b64 v[29:32], v13 offset0:28 offset1:109
	;; [unrolled: 1-line block ×5, first 2 shown]
	s_waitcnt lgkmcnt(4)
	v_add_f32_e32 v34, v21, v25
	s_waitcnt lgkmcnt(3)
	v_add_f32_e32 v35, v25, v29
	v_sub_f32_e32 v36, v26, v30
	v_add_f32_e32 v37, v22, v26
	v_add_f32_e32 v26, v26, v30
	v_sub_f32_e32 v38, v25, v29
	v_add_f32_e32 v25, v27, v31
	v_sub_f32_e32 v40, v28, v32
	v_add_f32_e32 v41, v24, v28
	v_add_f32_e32 v28, v28, v32
	;; [unrolled: 1-line block ×3, first 2 shown]
	v_sub_f32_e32 v42, v27, v31
	v_fma_f32 v21, -0.5, v35, v21
	v_fma_f32 v22, -0.5, v26, v22
	;; [unrolled: 1-line block ×3, first 2 shown]
	v_fmac_f32_e32 v24, -0.5, v28
	v_mov_b32_e32 v25, v21
	v_fmac_f32_e32 v21, 0xbf5db3d7, v36
	v_mov_b32_e32 v26, v22
	v_fmac_f32_e32 v22, 0x3f5db3d7, v38
	;; [unrolled: 2-line block ×4, first 2 shown]
	s_waitcnt lgkmcnt(0)
	s_barrier
	ds_write2_b64 v15, v[21:22], v[23:24] offset0:2 offset1:245
	v_add_f32_e32 v23, v39, v31
	v_add_f32_e32 v31, v8, v0
	;; [unrolled: 1-line block ×4, first 2 shown]
	v_fma_f32 v4, -0.5, v31, v4
	v_add_f32_e32 v31, v9, v1
	v_add_f32_e32 v22, v37, v30
	;; [unrolled: 1-line block ×3, first 2 shown]
	v_fma_f32 v5, -0.5, v31, v5
	v_add_f32_e32 v24, v41, v32
	v_add_f32_e32 v29, v29, v0
	v_mov_b32_e32 v32, v5
	v_sub_f32_e32 v0, v8, v0
	v_fmac_f32_e32 v32, 0xbf5db3d7, v0
	v_fmac_f32_e32 v25, 0x3f5db3d7, v36
	;; [unrolled: 1-line block ×4, first 2 shown]
	v_add_f32_e32 v0, v10, v2
	ds_write2_b64 v15, v[21:22], v[25:26] offset1:1
	v_fma_f32 v21, -0.5, v0, v6
	v_sub_f32_e32 v0, v11, v3
	v_mov_b32_e32 v25, v21
	v_fmac_f32_e32 v25, 0x3f5db3d7, v0
	v_fmac_f32_e32 v21, 0xbf5db3d7, v0
	v_add_f32_e32 v0, v11, v3
	v_fma_f32 v22, -0.5, v0, v7
	v_add_f32_e32 v30, v30, v1
	v_sub_f32_e32 v1, v9, v1
	v_mov_b32_e32 v31, v4
	v_sub_f32_e32 v0, v10, v2
	v_mov_b32_e32 v26, v22
	v_fmac_f32_e32 v31, 0x3f5db3d7, v1
	v_add_u32_e32 v8, 0xf30, v15
	v_fmac_f32_e32 v27, 0x3f5db3d7, v40
	v_fmac_f32_e32 v28, 0xbf5db3d7, v42
	;; [unrolled: 1-line block ×5, first 2 shown]
	ds_write2_b64 v8, v[29:30], v[31:32] offset1:1
	ds_write2_b64 v15, v[23:24], v[27:28] offset0:243 offset1:244
	ds_write_b64 v15, v[4:5] offset:3904
	s_and_saveexec_b64 s[2:3], vcc
	s_cbranch_execz .LBB0_21
; %bb.20:
	v_add_f32_e32 v0, v7, v11
	v_add_f32_e32 v1, v0, v3
	;; [unrolled: 1-line block ×4, first 2 shown]
	v_add_u32_e32 v2, 0x16c8, v15
	ds_write2_b64 v2, v[0:1], v[25:26] offset1:1
	ds_write_b64 v15, v[21:22] offset:5848
.LBB0_21:
	s_or_b64 exec, exec, s[2:3]
	s_movk_i32 s2, 0xab
	v_mul_lo_u16_sdwa v0, v20, s2 dst_sel:DWORD dst_unused:UNUSED_PAD src0_sel:BYTE_0 src1_sel:DWORD
	v_lshrrev_b16_e32 v32, 9, v0
	v_mul_lo_u16_e32 v0, 3, v32
	v_sub_u16_e32 v46, v20, v0
	v_mov_b32_e32 v0, 9
	v_mul_u32_u24_sdwa v0, v46, v0 dst_sel:DWORD dst_unused:UNUSED_PAD src0_sel:BYTE_0 src1_sel:DWORD
	v_lshlrev_b32_e32 v15, 3, v0
	s_waitcnt lgkmcnt(0)
	s_barrier
	global_load_dwordx4 v[0:3], v15, s[12:13]
	global_load_dwordx4 v[4:7], v15, s[12:13] offset:16
	global_load_dwordx4 v[8:11], v15, s[12:13] offset:32
	;; [unrolled: 1-line block ×3, first 2 shown]
	global_load_dwordx2 v[23:24], v15, s[12:13] offset:64
	ds_read2_b64 v[34:37], v33 offset1:81
	ds_read2_b64 v[38:41], v33 offset0:162 offset1:243
	ds_read2_b64 v[42:45], v12 offset0:68 offset1:149
	s_mov_b32 s6, 0x3f737871
	s_mov_b32 s7, 0x3f167918
	s_mov_b32 s2, 0xbf737871
	s_mov_b32 s3, 0xbf167918
	v_mul_u32_u24_e32 v32, 0xf0, v32
	s_waitcnt vmcnt(4) lgkmcnt(2)
	v_mul_f32_e32 v15, v1, v37
	v_mul_f32_e32 v31, v1, v36
	s_waitcnt lgkmcnt(1)
	v_mul_f32_e32 v1, v3, v39
	v_mul_f32_e32 v47, v3, v38
	v_fma_f32 v15, v0, v36, -v15
	v_fmac_f32_e32 v31, v0, v37
	v_fma_f32 v36, v2, v38, -v1
	v_fmac_f32_e32 v47, v2, v39
	ds_read2_b64 v[0:3], v14 offset0:102 offset1:183
	s_waitcnt vmcnt(3)
	v_mul_f32_e32 v14, v5, v41
	v_mul_f32_e32 v37, v5, v40
	s_waitcnt lgkmcnt(1)
	v_mul_f32_e32 v5, v7, v43
	v_mul_f32_e32 v38, v7, v42
	v_fma_f32 v14, v4, v40, -v14
	v_fmac_f32_e32 v37, v4, v41
	v_fma_f32 v39, v6, v42, -v5
	v_fmac_f32_e32 v38, v6, v43
	ds_read2_b64 v[4:7], v13 offset0:136 offset1:217
	s_waitcnt vmcnt(2)
	v_mul_f32_e32 v40, v9, v45
	v_mul_f32_e32 v9, v9, v44
	v_fma_f32 v40, v8, v44, -v40
	v_fmac_f32_e32 v9, v8, v45
	s_waitcnt lgkmcnt(1)
	v_mul_f32_e32 v8, v0, v11
	v_mul_f32_e32 v41, v1, v11
	v_fmac_f32_e32 v8, v1, v10
	s_waitcnt vmcnt(1) lgkmcnt(0)
	v_mul_f32_e32 v1, v4, v30
	v_mul_f32_e32 v11, v3, v28
	;; [unrolled: 1-line block ×4, first 2 shown]
	v_fma_f32 v0, v0, v10, -v41
	s_waitcnt vmcnt(0)
	v_mul_f32_e32 v10, v7, v24
	v_fmac_f32_e32 v1, v5, v29
	v_add_f32_e32 v5, v34, v36
	v_mul_f32_e32 v24, v6, v24
	v_fmac_f32_e32 v28, v3, v27
	v_fma_f32 v3, v4, v29, -v42
	v_fma_f32 v4, v6, v23, -v10
	v_add_f32_e32 v6, v39, v0
	v_add_f32_e32 v5, v5, v39
	v_fma_f32 v2, v2, v27, -v11
	v_fmac_f32_e32 v24, v7, v23
	v_sub_f32_e32 v11, v36, v39
	v_sub_f32_e32 v23, v3, v0
	v_add_f32_e32 v27, v36, v3
	v_sub_f32_e32 v29, v39, v36
	v_sub_f32_e32 v30, v0, v3
	v_fma_f32 v42, -0.5, v6, v34
	v_add_f32_e32 v5, v5, v0
	v_sub_f32_e32 v7, v47, v1
	v_add_f32_e32 v6, v11, v23
	v_fma_f32 v11, -0.5, v27, v34
	v_add_f32_e32 v23, v29, v30
	v_mov_b32_e32 v29, v42
	v_add_f32_e32 v34, v5, v3
	v_add_f32_e32 v5, v38, v8
	v_sub_f32_e32 v10, v38, v8
	v_fmac_f32_e32 v42, 0xbf737871, v7
	v_fmac_f32_e32 v29, 0x3f737871, v7
	v_fma_f32 v43, -0.5, v5, v35
	v_fmac_f32_e32 v42, 0xbf167918, v10
	v_fmac_f32_e32 v29, 0x3f167918, v10
	v_sub_f32_e32 v3, v36, v3
	v_mov_b32_e32 v36, v43
	v_fmac_f32_e32 v42, 0x3e9e377a, v6
	v_fmac_f32_e32 v29, 0x3e9e377a, v6
	;; [unrolled: 1-line block ×3, first 2 shown]
	v_sub_f32_e32 v0, v39, v0
	v_sub_f32_e32 v5, v47, v38
	;; [unrolled: 1-line block ×3, first 2 shown]
	v_fmac_f32_e32 v43, 0x3f737871, v3
	v_fmac_f32_e32 v36, 0xbf167918, v0
	v_add_f32_e32 v5, v5, v6
	v_fmac_f32_e32 v43, 0x3f167918, v0
	v_fmac_f32_e32 v36, 0x3e9e377a, v5
	;; [unrolled: 1-line block ×3, first 2 shown]
	v_add_f32_e32 v5, v47, v1
	v_add_f32_e32 v41, v35, v47
	v_fma_f32 v35, -0.5, v5, v35
	v_mov_b32_e32 v39, v35
	v_fmac_f32_e32 v39, 0x3f737871, v0
	v_fmac_f32_e32 v35, 0xbf737871, v0
	v_add_f32_e32 v0, v15, v14
	v_mov_b32_e32 v30, v11
	v_add_f32_e32 v0, v0, v40
	v_add_f32_e32 v27, v41, v38
	v_fmac_f32_e32 v11, 0x3f737871, v10
	v_fmac_f32_e32 v30, 0xbf737871, v10
	v_add_f32_e32 v0, v0, v2
	v_add_f32_e32 v27, v27, v8
	v_fmac_f32_e32 v11, 0xbf167918, v7
	v_fmac_f32_e32 v30, 0x3f167918, v7
	v_add_f32_e32 v10, v0, v4
	v_add_f32_e32 v0, v40, v2
	;; [unrolled: 1-line block ×3, first 2 shown]
	v_fmac_f32_e32 v11, 0x3e9e377a, v23
	v_fmac_f32_e32 v30, 0x3e9e377a, v23
	v_sub_f32_e32 v5, v38, v47
	v_sub_f32_e32 v1, v8, v1
	v_fma_f32 v23, -0.5, v0, v15
	v_fmac_f32_e32 v39, 0xbf167918, v3
	v_add_f32_e32 v1, v5, v1
	v_fmac_f32_e32 v35, 0x3f167918, v3
	v_sub_f32_e32 v0, v37, v24
	v_mov_b32_e32 v3, v23
	v_fmac_f32_e32 v39, 0x3e9e377a, v1
	v_fmac_f32_e32 v35, 0x3e9e377a, v1
	;; [unrolled: 1-line block ×3, first 2 shown]
	v_sub_f32_e32 v1, v9, v28
	v_sub_f32_e32 v5, v14, v40
	;; [unrolled: 1-line block ×3, first 2 shown]
	v_fmac_f32_e32 v23, 0xbf737871, v0
	v_fmac_f32_e32 v3, 0x3f167918, v1
	v_add_f32_e32 v5, v5, v6
	v_fmac_f32_e32 v23, 0xbf167918, v1
	v_fmac_f32_e32 v3, 0x3e9e377a, v5
	;; [unrolled: 1-line block ×3, first 2 shown]
	v_add_f32_e32 v5, v14, v4
	v_fmac_f32_e32 v15, -0.5, v5
	v_mov_b32_e32 v5, v15
	v_fmac_f32_e32 v5, 0xbf737871, v1
	v_fmac_f32_e32 v15, 0x3f737871, v1
	;; [unrolled: 1-line block ×4, first 2 shown]
	v_add_f32_e32 v0, v31, v37
	v_add_f32_e32 v0, v0, v9
	;; [unrolled: 1-line block ×5, first 2 shown]
	v_sub_f32_e32 v6, v40, v14
	v_sub_f32_e32 v7, v2, v4
	v_fma_f32 v27, -0.5, v0, v31
	v_add_f32_e32 v6, v6, v7
	v_sub_f32_e32 v0, v14, v4
	v_mov_b32_e32 v7, v27
	v_fmac_f32_e32 v7, 0xbf737871, v0
	v_sub_f32_e32 v1, v40, v2
	v_sub_f32_e32 v2, v37, v9
	;; [unrolled: 1-line block ×3, first 2 shown]
	v_fmac_f32_e32 v27, 0x3f737871, v0
	v_fmac_f32_e32 v7, 0xbf167918, v1
	v_add_f32_e32 v2, v2, v4
	v_fmac_f32_e32 v27, 0x3f167918, v1
	v_fmac_f32_e32 v7, 0x3e9e377a, v2
	;; [unrolled: 1-line block ×3, first 2 shown]
	v_add_f32_e32 v2, v37, v24
	v_fmac_f32_e32 v31, -0.5, v2
	v_mov_b32_e32 v14, v31
	v_fmac_f32_e32 v14, 0x3f737871, v1
	v_sub_f32_e32 v2, v9, v37
	v_sub_f32_e32 v4, v28, v24
	v_fmac_f32_e32 v5, 0x3e9e377a, v6
	v_fmac_f32_e32 v14, 0xbf167918, v0
	v_add_f32_e32 v2, v2, v4
	v_fmac_f32_e32 v31, 0xbf737871, v1
	v_mul_f32_e32 v24, 0x3f167918, v7
	v_fmac_f32_e32 v15, 0x3e9e377a, v6
	v_fmac_f32_e32 v14, 0x3e9e377a, v2
	;; [unrolled: 1-line block ×4, first 2 shown]
	v_mul_f32_e32 v45, 0xbf737871, v5
	v_fmac_f32_e32 v31, 0x3e9e377a, v2
	v_add_f32_e32 v2, v29, v24
	v_mul_f32_e32 v28, 0x3f737871, v14
	v_mul_f32_e32 v1, 0x3e9e377a, v15
	v_mul_f32_e32 v44, 0xbf167918, v3
	v_fmac_f32_e32 v45, 0x3e9e377a, v14
	v_sub_f32_e32 v14, v29, v24
	v_mov_b32_e32 v29, 3
	v_add_f32_e32 v0, v34, v10
	v_fma_f32 v37, v31, s6, -v1
	v_mul_f32_e32 v1, 0x3f4f1bbd, v23
	v_fmac_f32_e32 v44, 0x3f4f1bbd, v7
	v_mul_f32_e32 v7, 0x3e9e377a, v31
	v_mul_f32_e32 v9, 0x3f4f1bbd, v27
	v_sub_f32_e32 v10, v34, v10
	v_lshlrev_b32_sdwa v34, v29, v46 dst_sel:DWORD dst_unused:UNUSED_PAD src0_sel:DWORD src1_sel:BYTE_0
	v_fmac_f32_e32 v28, 0x3e9e377a, v5
	v_fma_f32 v40, v27, s7, -v1
	v_add_f32_e32 v1, v41, v38
	v_add_f32_e32 v3, v36, v44
	v_fma_f32 v31, v15, s2, -v7
	v_fma_f32 v47, v23, s3, -v9
	v_add3_u32 v32, 0, v32, v34
	v_add_f32_e32 v4, v30, v28
	v_add_f32_e32 v6, v11, v37
	v_add_f32_e32 v8, v42, v40
	v_add_f32_e32 v5, v39, v45
	v_add_f32_e32 v7, v35, v31
	v_add_f32_e32 v9, v43, v47
	v_sub_f32_e32 v27, v30, v28
	v_sub_f32_e32 v30, v11, v37
	;; [unrolled: 1-line block ×8, first 2 shown]
	s_barrier
	ds_write2_b64 v32, v[0:1], v[2:3] offset1:3
	ds_write2_b64 v32, v[4:5], v[6:7] offset0:6 offset1:9
	ds_write2_b64 v32, v[8:9], v[10:11] offset0:12 offset1:15
	;; [unrolled: 1-line block ×4, first 2 shown]
	v_add_u32_e32 v0, 0x400, v33
	s_waitcnt lgkmcnt(0)
	s_barrier
	ds_read2_b64 v[4:7], v33 offset1:81
	ds_read2_b64 v[0:3], v0 offset0:34 offset1:142
	ds_read2_b64 v[8:11], v13 offset0:28 offset1:109
	;; [unrolled: 1-line block ×3, first 2 shown]
	ds_read_b64 v[27:28], v33 offset:5616
	s_and_saveexec_b64 s[2:3], vcc
	s_cbranch_execz .LBB0_23
; %bb.22:
	ds_read_b64 v[23:24], v33 offset:1944
	ds_read_b64 v[25:26], v33 offset:4104
	;; [unrolled: 1-line block ×3, first 2 shown]
.LBB0_23:
	s_or_b64 exec, exec, s[2:3]
	v_add_u32_e32 v34, 0xf3, v20
	s_mov_b32 s2, 0x8889
	v_mul_u32_u24_sdwa v30, v34, s2 dst_sel:DWORD dst_unused:UNUSED_PAD src0_sel:WORD_0 src1_sel:DWORD
	v_lshrrev_b32_e32 v30, 20, v30
	v_mul_lo_u16_e32 v30, 30, v30
	v_sub_u16_e32 v30, v34, v30
	v_lshlrev_b32_e32 v31, 4, v30
	v_add_u32_e32 v35, 0xa2, v20
	s_movk_i32 s2, 0x89
	global_load_dwordx4 v[37:40], v31, s[12:13] offset:216
	v_mul_lo_u16_sdwa v32, v35, s2 dst_sel:DWORD dst_unused:UNUSED_PAD src0_sel:BYTE_0 src1_sel:DWORD
	v_lshrrev_b16_e32 v32, 12, v32
	v_mul_lo_u16_e32 v36, 30, v32
	v_mov_b32_e32 v31, 4
	v_sub_u16_e32 v45, v35, v36
	v_lshlrev_b32_sdwa v36, v31, v45 dst_sel:DWORD dst_unused:UNUSED_PAD src0_sel:DWORD src1_sel:BYTE_0
	global_load_dwordx4 v[41:44], v36, s[12:13] offset:216
	v_add_u32_e32 v36, 0x51, v20
	s_waitcnt vmcnt(1) lgkmcnt(1)
	v_mul_f32_e32 v46, v26, v38
	v_mul_f32_e32 v47, v25, v38
	v_fma_f32 v46, v25, v37, -v46
	s_waitcnt lgkmcnt(0)
	v_mul_f32_e32 v25, v22, v40
	v_mul_f32_e32 v48, v21, v40
	v_fma_f32 v49, v21, v39, -v25
	v_mul_lo_u16_sdwa v21, v36, s2 dst_sel:DWORD dst_unused:UNUSED_PAD src0_sel:BYTE_0 src1_sel:DWORD
	v_lshrrev_b16_e32 v50, 12, v21
	v_mul_lo_u16_e32 v21, 30, v50
	v_fmac_f32_e32 v48, v22, v39
	v_sub_u16_e32 v51, v36, v21
	s_waitcnt vmcnt(0)
	v_mul_f32_e32 v22, v42, v15
	v_lshlrev_b32_sdwa v21, v31, v51 dst_sel:DWORD dst_unused:UNUSED_PAD src0_sel:DWORD src1_sel:BYTE_0
	v_mul_f32_e32 v25, v44, v28
	v_mul_f32_e32 v44, v44, v27
	;; [unrolled: 1-line block ×3, first 2 shown]
	v_fma_f32 v22, v41, v14, -v22
	v_mul_lo_u16_sdwa v14, v20, s2 dst_sel:DWORD dst_unused:UNUSED_PAD src0_sel:BYTE_0 src1_sel:DWORD
	v_fmac_f32_e32 v47, v26, v37
	v_fma_f32 v52, v43, v27, -v25
	v_fmac_f32_e32 v44, v43, v28
	v_fmac_f32_e32 v42, v41, v15
	global_load_dwordx4 v[25:28], v21, s[12:13] offset:216
	v_lshrrev_b16_e32 v41, 12, v14
	v_mul_lo_u16_e32 v14, 30, v41
	v_sub_u16_e32 v43, v20, v14
	v_lshlrev_b32_sdwa v14, v31, v43 dst_sel:DWORD dst_unused:UNUSED_PAD src0_sel:DWORD src1_sel:BYTE_0
	global_load_dwordx4 v[37:40], v14, s[12:13] offset:216
	v_sub_f32_e32 v31, v46, v49
	s_waitcnt vmcnt(0)
	s_barrier
	v_mul_f32_e32 v14, v26, v13
	v_fma_f32 v14, v25, v12, -v14
	v_mul_f32_e32 v12, v26, v12
	v_fmac_f32_e32 v12, v25, v13
	v_mul_f32_e32 v13, v28, v11
	v_fma_f32 v13, v27, v10, -v13
	v_mul_f32_e32 v10, v28, v10
	v_fmac_f32_e32 v10, v27, v11
	;; [unrolled: 4-line block ×3, first 2 shown]
	v_mul_f32_e32 v9, v38, v3
	v_mul_f32_e32 v15, v38, v2
	v_fma_f32 v2, v37, v2, -v9
	v_fmac_f32_e32 v15, v37, v3
	v_add_f32_e32 v3, v4, v2
	v_add_f32_e32 v25, v5, v15
	;; [unrolled: 1-line block ×3, first 2 shown]
	v_sub_f32_e32 v21, v15, v8
	v_add_f32_e32 v15, v15, v8
	v_sub_f32_e32 v26, v2, v11
	v_add_f32_e32 v2, v3, v11
	v_add_f32_e32 v3, v25, v8
	;; [unrolled: 1-line block ×4, first 2 shown]
	v_fma_f32 v6, -0.5, v8, v6
	v_add_f32_e32 v11, v12, v10
	v_fma_f32 v4, -0.5, v9, v4
	v_fma_f32 v5, -0.5, v15, v5
	v_sub_f32_e32 v15, v12, v10
	v_add_f32_e32 v9, v7, v12
	v_fmac_f32_e32 v7, -0.5, v11
	v_mov_b32_e32 v12, v6
	v_sub_f32_e32 v14, v14, v13
	v_add_f32_e32 v8, v27, v13
	v_fmac_f32_e32 v6, 0xbf5db3d7, v15
	v_mov_b32_e32 v13, v7
	v_fmac_f32_e32 v12, 0x3f5db3d7, v15
	v_add_f32_e32 v15, v0, v22
	v_fmac_f32_e32 v13, 0xbf5db3d7, v14
	v_fmac_f32_e32 v7, 0x3f5db3d7, v14
	v_add_f32_e32 v14, v22, v52
	v_add_f32_e32 v27, v15, v52
	;; [unrolled: 1-line block ×4, first 2 shown]
	v_mov_b32_e32 v10, v4
	v_fma_f32 v0, -0.5, v14, v0
	v_add_f32_e32 v28, v15, v44
	v_add_f32_e32 v15, v42, v44
	v_fmac_f32_e32 v4, 0xbf5db3d7, v21
	v_fmac_f32_e32 v10, 0x3f5db3d7, v21
	v_sub_f32_e32 v21, v42, v44
	v_mov_b32_e32 v14, v0
	v_fmac_f32_e32 v1, -0.5, v15
	v_fmac_f32_e32 v14, 0x3f5db3d7, v21
	v_fmac_f32_e32 v0, 0xbf5db3d7, v21
	v_sub_f32_e32 v21, v22, v52
	v_mov_b32_e32 v15, v1
	v_add_f32_e32 v22, v46, v49
	v_mov_b32_e32 v11, v5
	v_fmac_f32_e32 v15, 0xbf5db3d7, v21
	v_fmac_f32_e32 v1, 0x3f5db3d7, v21
	v_add_f32_e32 v21, v23, v46
	v_fmac_f32_e32 v23, -0.5, v22
	v_fmac_f32_e32 v5, 0x3f5db3d7, v26
	v_fmac_f32_e32 v11, 0xbf5db3d7, v26
	v_sub_f32_e32 v22, v47, v48
	v_mov_b32_e32 v25, v23
	v_add_f32_e32 v26, v47, v48
	v_fmac_f32_e32 v25, 0x3f5db3d7, v22
	v_fmac_f32_e32 v23, 0xbf5db3d7, v22
	v_add_f32_e32 v22, v24, v47
	v_fmac_f32_e32 v24, -0.5, v26
	v_mov_b32_e32 v26, v24
	v_fmac_f32_e32 v26, 0xbf5db3d7, v31
	v_fmac_f32_e32 v24, 0x3f5db3d7, v31
	v_mul_u32_u24_e32 v31, 0x2d0, v41
	v_lshlrev_b32_sdwa v37, v29, v43 dst_sel:DWORD dst_unused:UNUSED_PAD src0_sel:DWORD src1_sel:BYTE_0
	v_add3_u32 v31, 0, v31, v37
	ds_write2_b64 v31, v[2:3], v[10:11] offset1:30
	ds_write_b64 v31, v[4:5] offset:480
	v_mul_u32_u24_e32 v2, 0x2d0, v50
	v_lshlrev_b32_sdwa v3, v29, v51 dst_sel:DWORD dst_unused:UNUSED_PAD src0_sel:DWORD src1_sel:BYTE_0
	v_add3_u32 v2, 0, v2, v3
	ds_write2_b64 v2, v[8:9], v[12:13] offset1:30
	ds_write_b64 v2, v[6:7] offset:480
	v_mul_u32_u24_e32 v2, 0x2d0, v32
	v_lshlrev_b32_sdwa v3, v29, v45 dst_sel:DWORD dst_unused:UNUSED_PAD src0_sel:DWORD src1_sel:BYTE_0
	v_add_f32_e32 v21, v21, v49
	v_add_f32_e32 v22, v22, v48
	v_add3_u32 v2, 0, v2, v3
	ds_write2_b64 v2, v[27:28], v[14:15] offset1:30
	ds_write_b64 v2, v[0:1] offset:480
	s_and_saveexec_b64 s[2:3], vcc
	s_cbranch_execz .LBB0_25
; %bb.24:
	v_lshl_add_u32 v0, v30, 3, 0
	v_add_u32_e32 v1, 0x1000, v0
	ds_write2_b64 v1, v[21:22], v[25:26] offset0:208 offset1:238
	ds_write_b64 v0, v[23:24] offset:6240
.LBB0_25:
	s_or_b64 exec, exec, s[2:3]
	v_add_u32_e32 v0, 0x400, v33
	v_add_u32_e32 v8, 0x1000, v33
	;; [unrolled: 1-line block ×3, first 2 shown]
	s_waitcnt lgkmcnt(0)
	s_barrier
	ds_read2_b64 v[4:7], v33 offset1:81
	ds_read2_b64 v[0:3], v0 offset0:34 offset1:142
	ds_read2_b64 v[8:11], v8 offset0:28 offset1:109
	;; [unrolled: 1-line block ×3, first 2 shown]
	ds_read_b64 v[27:28], v33 offset:5616
	s_and_saveexec_b64 s[2:3], vcc
	s_cbranch_execz .LBB0_27
; %bb.26:
	ds_read_b64 v[21:22], v33 offset:1944
	ds_read_b64 v[25:26], v33 offset:4104
	ds_read_b64 v[23:24], v33 offset:6264
.LBB0_27:
	s_or_b64 exec, exec, s[2:3]
	s_movk_i32 s2, 0x2d83
	v_mul_u32_u24_sdwa v29, v34, s2 dst_sel:DWORD dst_unused:UNUSED_PAD src0_sel:WORD_0 src1_sel:DWORD
	s_movk_i32 s2, 0xb7
	v_mul_lo_u16_sdwa v32, v35, s2 dst_sel:DWORD dst_unused:UNUSED_PAD src0_sel:BYTE_0 src1_sel:DWORD
	v_lshrrev_b32_e32 v29, 20, v29
	v_lshrrev_b16_e32 v32, 14, v32
	v_mul_lo_u16_e32 v29, 0x5a, v29
	v_mul_lo_u16_e32 v37, 0x5a, v32
	v_sub_u16_e32 v31, v34, v29
	v_mov_b32_e32 v30, 4
	v_sub_u16_e32 v53, v35, v37
	v_lshlrev_b32_e32 v29, 4, v31
	v_lshlrev_b32_sdwa v30, v30, v53 dst_sel:DWORD dst_unused:UNUSED_PAD src0_sel:DWORD src1_sel:BYTE_0
	v_add_u32_e32 v45, -9, v20
	v_cmp_gt_u32_e64 s[2:3], 9, v20
	global_load_dwordx4 v[37:40], v29, s[12:13] offset:696
	global_load_dwordx4 v[41:44], v30, s[12:13] offset:696
	v_lshlrev_b32_e32 v29, 1, v20
	v_mov_b32_e32 v30, 0
	v_cndmask_b32_e64 v54, v45, v36, s[2:3]
	v_lshlrev_b64 v[49:50], 3, v[29:30]
	v_lshlrev_b32_e32 v29, 1, v54
	v_lshlrev_b64 v[29:30], 3, v[29:30]
	v_mov_b32_e32 v51, s13
	v_add_co_u32_e64 v29, s[2:3], s12, v29
	v_addc_co_u32_e64 v30, s[2:3], v51, v30, s[2:3]
	global_load_dwordx4 v[45:48], v[29:30], off offset:696
	v_add_co_u32_e64 v29, s[2:3], s12, v49
	v_addc_co_u32_e64 v30, s[2:3], v51, v50, s[2:3]
	global_load_dwordx4 v[49:52], v[29:30], off offset:696
	s_waitcnt vmcnt(0) lgkmcnt(0)
	s_barrier
	v_cmp_lt_u32_e64 s[2:3], 8, v20
	v_mul_f32_e32 v55, v26, v38
	v_mul_f32_e32 v38, v25, v38
	;; [unrolled: 1-line block ×4, first 2 shown]
	v_fma_f32 v55, v25, v37, -v55
	v_fmac_f32_e32 v38, v26, v37
	v_fma_f32 v37, v23, v39, -v56
	v_fmac_f32_e32 v40, v24, v39
	v_mul_f32_e32 v58, v42, v15
	v_mul_f32_e32 v42, v42, v14
	v_fmac_f32_e32 v42, v41, v15
	v_mul_f32_e32 v57, v44, v28
	v_mul_f32_e32 v44, v44, v27
	;; [unrolled: 1-line block ×6, first 2 shown]
	v_fmac_f32_e32 v24, v47, v11
	v_mul_f32_e32 v39, v52, v9
	v_mul_f32_e32 v46, v52, v8
	;; [unrolled: 1-line block ×4, first 2 shown]
	v_fma_f32 v8, v51, v8, -v39
	v_fmac_f32_e32 v46, v51, v9
	v_fma_f32 v2, v49, v2, -v48
	v_fmac_f32_e32 v50, v49, v3
	v_add_f32_e32 v9, v50, v46
	v_add_f32_e32 v11, v2, v8
	v_fmac_f32_e32 v26, v45, v13
	v_fma_f32 v13, v47, v10, -v23
	v_add_f32_e32 v3, v5, v50
	v_add_f32_e32 v10, v4, v2
	v_fma_f32 v4, -0.5, v11, v4
	v_fma_f32 v5, -0.5, v9, v5
	v_sub_f32_e32 v15, v50, v46
	v_sub_f32_e32 v23, v2, v8
	v_add_f32_e32 v2, v10, v8
	v_mov_b32_e32 v10, v4
	v_mov_b32_e32 v11, v5
	v_add_f32_e32 v3, v3, v46
	v_fmac_f32_e32 v10, 0x3f5db3d7, v15
	v_fmac_f32_e32 v11, 0xbf5db3d7, v23
	ds_write2_b64 v33, v[2:3], v[10:11] offset1:90
	v_add_f32_e32 v3, v26, v24
	v_fma_f32 v12, v45, v12, -v25
	v_add_f32_e32 v39, v7, v26
	v_fmac_f32_e32 v7, -0.5, v3
	v_fma_f32 v27, v43, v27, -v57
	v_fma_f32 v14, v41, v14, -v58
	v_sub_f32_e32 v10, v12, v13
	v_mov_b32_e32 v3, v7
	v_fmac_f32_e32 v3, 0xbf5db3d7, v10
	v_fmac_f32_e32 v7, 0x3f5db3d7, v10
	v_add_f32_e32 v10, v14, v27
	v_fmac_f32_e32 v44, v43, v28
	v_add_f32_e32 v11, v0, v14
	v_fma_f32 v0, -0.5, v10, v0
	v_add_f32_e32 v25, v6, v12
	v_add_f32_e32 v28, v12, v13
	v_sub_f32_e32 v12, v42, v44
	v_mov_b32_e32 v10, v0
	v_fmac_f32_e32 v10, 0x3f5db3d7, v12
	v_fmac_f32_e32 v0, 0xbf5db3d7, v12
	v_add_f32_e32 v12, v11, v27
	v_add_f32_e32 v11, v1, v42
	;; [unrolled: 1-line block ×5, first 2 shown]
	v_fmac_f32_e32 v1, -0.5, v11
	v_fmac_f32_e32 v4, 0xbf5db3d7, v15
	v_fmac_f32_e32 v5, 0x3f5db3d7, v23
	v_sub_f32_e32 v14, v14, v27
	v_mov_b32_e32 v11, v1
	v_fma_f32 v6, -0.5, v28, v6
	v_fmac_f32_e32 v11, 0xbf5db3d7, v14
	v_fmac_f32_e32 v1, 0x3f5db3d7, v14
	v_add_f32_e32 v14, v21, v55
	ds_write_b64 v33, v[4:5] offset:1440
	v_mov_b32_e32 v4, 0x870
	v_sub_f32_e32 v41, v26, v24
	v_mov_b32_e32 v2, v6
	v_add_f32_e32 v23, v14, v37
	v_add_f32_e32 v14, v22, v38
	v_cndmask_b32_e64 v4, 0, v4, s[2:3]
	v_lshlrev_b32_e32 v5, 3, v54
	v_add_f32_e32 v9, v39, v24
	v_fmac_f32_e32 v2, 0x3f5db3d7, v41
	v_add_f32_e32 v15, v55, v37
	v_add_f32_e32 v24, v14, v40
	;; [unrolled: 1-line block ×3, first 2 shown]
	v_add3_u32 v4, 0, v4, v5
	v_fmac_f32_e32 v6, 0xbf5db3d7, v41
	v_fmac_f32_e32 v21, -0.5, v15
	v_fmac_f32_e32 v22, -0.5, v14
	ds_write2_b64 v4, v[8:9], v[2:3] offset1:90
	ds_write_b64 v4, v[6:7] offset:1440
	v_mov_b32_e32 v3, 3
	v_sub_f32_e32 v15, v38, v40
	v_mov_b32_e32 v25, v21
	v_sub_f32_e32 v14, v55, v37
	v_mov_b32_e32 v26, v22
	v_mul_u32_u24_e32 v2, 0x870, v32
	v_lshlrev_b32_sdwa v3, v3, v53 dst_sel:DWORD dst_unused:UNUSED_PAD src0_sel:DWORD src1_sel:BYTE_0
	v_fmac_f32_e32 v25, 0x3f5db3d7, v15
	v_fmac_f32_e32 v21, 0xbf5db3d7, v15
	v_fmac_f32_e32 v26, 0xbf5db3d7, v14
	v_fmac_f32_e32 v22, 0x3f5db3d7, v14
	v_add3_u32 v2, 0, v2, v3
	ds_write2_b64 v2, v[12:13], v[10:11] offset1:90
	ds_write_b64 v2, v[0:1] offset:1440
	s_and_saveexec_b64 s[2:3], vcc
	s_cbranch_execz .LBB0_29
; %bb.28:
	v_lshl_add_u32 v0, v31, 3, 0
	v_add_u32_e32 v1, 0x1000, v0
	ds_write2_b64 v1, v[23:24], v[25:26] offset0:28 offset1:118
	ds_write_b64 v0, v[21:22] offset:5760
.LBB0_29:
	s_or_b64 exec, exec, s[2:3]
	v_add_u32_e32 v37, 0x400, v33
	v_add_u32_e32 v39, 0x1000, v33
	;; [unrolled: 1-line block ×3, first 2 shown]
	s_waitcnt lgkmcnt(0)
	s_barrier
	ds_read2_b64 v[4:7], v33 offset1:81
	ds_read2_b64 v[0:3], v37 offset0:34 offset1:142
	ds_read2_b64 v[12:15], v39 offset0:28 offset1:109
	;; [unrolled: 1-line block ×3, first 2 shown]
	ds_read_b64 v[31:32], v33 offset:5616
	s_and_saveexec_b64 s[2:3], vcc
	s_cbranch_execz .LBB0_31
; %bb.30:
	ds_read_b64 v[23:24], v33 offset:1944
	ds_read_b64 v[25:26], v33 offset:4104
	;; [unrolled: 1-line block ×3, first 2 shown]
.LBB0_31:
	s_or_b64 exec, exec, s[2:3]
	v_lshlrev_b32_e32 v27, 1, v36
	v_mov_b32_e32 v28, 0
	global_load_dwordx4 v[40:43], v[29:30], off offset:2136
	v_lshlrev_b64 v[29:30], 3, v[27:28]
	v_mov_b32_e32 v36, s13
	v_add_co_u32_e64 v29, s[2:3], s12, v29
	v_addc_co_u32_e64 v30, s[2:3], v36, v30, s[2:3]
	v_lshlrev_b32_e32 v27, 1, v35
	global_load_dwordx4 v[44:47], v[29:30], off offset:2136
	v_lshlrev_b64 v[29:30], 3, v[27:28]
	v_add_co_u32_e64 v29, s[2:3], s12, v29
	v_addc_co_u32_e64 v30, s[2:3], v36, v30, s[2:3]
	global_load_dwordx4 v[48:51], v[29:30], off offset:2136
	s_waitcnt vmcnt(0) lgkmcnt(0)
	s_barrier
	v_mul_f32_e32 v27, v41, v3
	v_mul_f32_e32 v29, v41, v2
	;; [unrolled: 1-line block ×4, first 2 shown]
	v_fma_f32 v2, v40, v2, -v27
	v_fmac_f32_e32 v29, v40, v3
	v_fma_f32 v3, v42, v12, -v30
	v_fmac_f32_e32 v35, v42, v13
	v_add_f32_e32 v13, v2, v3
	v_add_f32_e32 v12, v4, v2
	v_sub_f32_e32 v27, v29, v35
	v_add_f32_e32 v30, v5, v29
	v_add_f32_e32 v29, v29, v35
	v_fma_f32 v4, -0.5, v13, v4
	v_sub_f32_e32 v36, v2, v3
	v_add_f32_e32 v2, v12, v3
	v_add_f32_e32 v3, v30, v35
	v_fma_f32 v5, -0.5, v29, v5
	v_mul_f32_e32 v29, v47, v15
	v_mul_f32_e32 v30, v47, v14
	v_mul_f32_e32 v35, v45, v9
	v_mul_f32_e32 v40, v45, v8
	v_mov_b32_e32 v12, v4
	v_fmac_f32_e32 v4, 0xbf5db3d7, v27
	v_fma_f32 v14, v46, v14, -v29
	v_fmac_f32_e32 v30, v46, v15
	v_fma_f32 v8, v44, v8, -v35
	v_fmac_f32_e32 v40, v44, v9
	v_fmac_f32_e32 v12, 0x3f5db3d7, v27
	v_mul_f32_e32 v9, v49, v11
	v_mul_f32_e32 v15, v49, v10
	;; [unrolled: 1-line block ×4, first 2 shown]
	v_mov_b32_e32 v13, v5
	v_fma_f32 v10, v48, v10, -v9
	v_fmac_f32_e32 v15, v48, v11
	v_fma_f32 v27, v50, v31, -v27
	v_fmac_f32_e32 v29, v50, v32
	v_add_f32_e32 v9, v6, v8
	v_add_f32_e32 v32, v7, v40
	v_fmac_f32_e32 v5, 0x3f5db3d7, v36
	v_fmac_f32_e32 v13, 0xbf5db3d7, v36
	v_add_f32_e32 v11, v8, v14
	v_sub_f32_e32 v31, v40, v30
	v_add_f32_e32 v35, v40, v30
	v_sub_f32_e32 v36, v8, v14
	v_add_f32_e32 v8, v9, v14
	v_add_f32_e32 v9, v32, v30
	;; [unrolled: 1-line block ×4, first 2 shown]
	v_fma_f32 v6, -0.5, v11, v6
	v_fmac_f32_e32 v7, -0.5, v35
	v_add_f32_e32 v14, v0, v10
	v_add_f32_e32 v35, v1, v15
	v_fma_f32 v0, -0.5, v30, v0
	v_fmac_f32_e32 v1, -0.5, v40
	v_sub_f32_e32 v32, v15, v29
	v_sub_f32_e32 v41, v10, v27
	v_mov_b32_e32 v10, v6
	v_mov_b32_e32 v11, v7
	v_add_f32_e32 v15, v35, v29
	v_mov_b32_e32 v29, v0
	v_mov_b32_e32 v30, v1
	v_fmac_f32_e32 v6, 0xbf5db3d7, v31
	v_fmac_f32_e32 v7, 0x3f5db3d7, v36
	v_add_f32_e32 v14, v14, v27
	v_fmac_f32_e32 v10, 0x3f5db3d7, v31
	v_fmac_f32_e32 v11, 0xbf5db3d7, v36
	;; [unrolled: 1-line block ×6, first 2 shown]
	ds_write2_b64 v33, v[2:3], v[8:9] offset1:81
	ds_write2_b64 v39, v[4:5], v[6:7] offset0:28 offset1:109
	ds_write2_b64 v37, v[14:15], v[12:13] offset0:34 offset1:142
	;; [unrolled: 1-line block ×3, first 2 shown]
	ds_write_b64 v33, v[0:1] offset:5616
	s_and_saveexec_b64 s[2:3], vcc
	s_cbranch_execz .LBB0_33
; %bb.32:
	v_subrev_u32_e32 v0, 27, v20
	v_cndmask_b32_e32 v0, v0, v34, vcc
	v_lshlrev_b32_e32 v27, 1, v0
	v_lshlrev_b64 v[0:1], 3, v[27:28]
	v_mov_b32_e32 v2, s13
	v_add_co_u32_e32 v0, vcc, s12, v0
	v_addc_co_u32_e32 v1, vcc, v2, v1, vcc
	global_load_dwordx4 v[0:3], v[0:1], off offset:2136
	s_waitcnt vmcnt(0)
	v_mul_f32_e32 v4, v26, v1
	v_mul_f32_e32 v5, v22, v3
	;; [unrolled: 1-line block ×4, first 2 shown]
	v_fma_f32 v4, v25, v0, -v4
	v_fma_f32 v5, v21, v2, -v5
	v_fmac_f32_e32 v1, v26, v0
	v_fmac_f32_e32 v3, v22, v2
	v_add_f32_e32 v0, v1, v3
	v_add_f32_e32 v7, v4, v5
	v_sub_f32_e32 v6, v4, v5
	v_add_f32_e32 v2, v24, v1
	v_sub_f32_e32 v8, v1, v3
	v_add_f32_e32 v4, v23, v4
	v_fma_f32 v1, -0.5, v0, v24
	v_fma_f32 v0, -0.5, v7, v23
	v_add_f32_e32 v3, v2, v3
	v_add_f32_e32 v2, v4, v5
	v_mov_b32_e32 v5, v1
	v_fmac_f32_e32 v1, 0xbf5db3d7, v6
	v_mov_b32_e32 v4, v0
	v_fmac_f32_e32 v0, 0x3f5db3d7, v8
	ds_write_b64 v33, v[2:3] offset:1944
	v_fmac_f32_e32 v5, 0x3f5db3d7, v6
	v_fmac_f32_e32 v4, 0xbf5db3d7, v8
	ds_write_b64 v33, v[0:1] offset:4104
	ds_write_b64 v33, v[4:5] offset:6264
.LBB0_33:
	s_or_b64 exec, exec, s[2:3]
	s_waitcnt lgkmcnt(0)
	s_barrier
	s_and_saveexec_b64 s[2:3], s[0:1]
	s_cbranch_execz .LBB0_35
; %bb.34:
	v_mul_lo_u32 v0, s5, v18
	v_mul_lo_u32 v1, s4, v19
	v_mad_u64_u32 v[4:5], s[0:1], s4, v18, 0
	v_mov_b32_e32 v7, s11
	v_lshl_add_u32 v6, v20, 3, 0
	v_add3_u32 v5, v5, v1, v0
	v_lshlrev_b64 v[4:5], 3, v[4:5]
	v_mov_b32_e32 v21, 0
	v_add_co_u32_e32 v8, vcc, s10, v4
	v_addc_co_u32_e32 v7, vcc, v7, v5, vcc
	v_lshlrev_b64 v[4:5], 3, v[16:17]
	ds_read2_b64 v[0:3], v6 offset1:81
	v_add_co_u32_e32 v8, vcc, v8, v4
	v_addc_co_u32_e32 v7, vcc, v7, v5, vcc
	v_lshlrev_b64 v[4:5], 3, v[20:21]
	v_add_co_u32_e32 v4, vcc, v8, v4
	v_addc_co_u32_e32 v5, vcc, v7, v5, vcc
	s_waitcnt lgkmcnt(0)
	global_store_dwordx2 v[4:5], v[0:1], off
	v_add_u32_e32 v0, 0x51, v20
	v_mov_b32_e32 v1, v21
	v_lshlrev_b64 v[0:1], 3, v[0:1]
	v_add_u32_e32 v4, 0xa2, v20
	v_add_co_u32_e32 v0, vcc, v8, v0
	v_addc_co_u32_e32 v1, vcc, v7, v1, vcc
	global_store_dwordx2 v[0:1], v[2:3], off
	v_mov_b32_e32 v5, v21
	ds_read2_b64 v[0:3], v6 offset0:162 offset1:243
	v_lshlrev_b64 v[4:5], 3, v[4:5]
	v_add_co_u32_e32 v4, vcc, v8, v4
	v_addc_co_u32_e32 v5, vcc, v7, v5, vcc
	s_waitcnt lgkmcnt(0)
	global_store_dwordx2 v[4:5], v[0:1], off
	v_add_u32_e32 v0, 0xf3, v20
	v_mov_b32_e32 v1, v21
	v_lshlrev_b64 v[0:1], 3, v[0:1]
	v_add_u32_e32 v4, 0x144, v20
	v_add_co_u32_e32 v0, vcc, v8, v0
	v_addc_co_u32_e32 v1, vcc, v7, v1, vcc
	global_store_dwordx2 v[0:1], v[2:3], off
	v_add_u32_e32 v0, 0x800, v6
	v_mov_b32_e32 v5, v21
	ds_read2_b64 v[0:3], v0 offset0:68 offset1:149
	v_lshlrev_b64 v[4:5], 3, v[4:5]
	v_add_co_u32_e32 v4, vcc, v8, v4
	v_addc_co_u32_e32 v5, vcc, v7, v5, vcc
	s_waitcnt lgkmcnt(0)
	global_store_dwordx2 v[4:5], v[0:1], off
	v_add_u32_e32 v0, 0x195, v20
	v_mov_b32_e32 v1, v21
	v_lshlrev_b64 v[0:1], 3, v[0:1]
	v_add_u32_e32 v4, 0x1e6, v20
	v_add_co_u32_e32 v0, vcc, v8, v0
	v_addc_co_u32_e32 v1, vcc, v7, v1, vcc
	global_store_dwordx2 v[0:1], v[2:3], off
	v_add_u32_e32 v0, 0xc00, v6
	;; [unrolled: 15-line block ×3, first 2 shown]
	v_mov_b32_e32 v5, v21
	ds_read2_b64 v[0:3], v0 offset0:136 offset1:217
	v_lshlrev_b64 v[4:5], 3, v[4:5]
	v_add_u32_e32 v20, 0x2d9, v20
	v_add_co_u32_e32 v4, vcc, v8, v4
	v_addc_co_u32_e32 v5, vcc, v7, v5, vcc
	s_waitcnt lgkmcnt(0)
	global_store_dwordx2 v[4:5], v[0:1], off
	v_lshlrev_b64 v[0:1], 3, v[20:21]
	v_add_co_u32_e32 v0, vcc, v8, v0
	v_addc_co_u32_e32 v1, vcc, v7, v1, vcc
	global_store_dwordx2 v[0:1], v[2:3], off
.LBB0_35:
	s_endpgm
	.section	.rodata,"a",@progbits
	.p2align	6, 0x0
	.amdhsa_kernel fft_rtc_fwd_len810_factors_3_10_3_3_3_wgs_81_tpt_81_halfLds_sp_op_CI_CI_unitstride_sbrr_C2R_dirReg
		.amdhsa_group_segment_fixed_size 0
		.amdhsa_private_segment_fixed_size 0
		.amdhsa_kernarg_size 104
		.amdhsa_user_sgpr_count 6
		.amdhsa_user_sgpr_private_segment_buffer 1
		.amdhsa_user_sgpr_dispatch_ptr 0
		.amdhsa_user_sgpr_queue_ptr 0
		.amdhsa_user_sgpr_kernarg_segment_ptr 1
		.amdhsa_user_sgpr_dispatch_id 0
		.amdhsa_user_sgpr_flat_scratch_init 0
		.amdhsa_user_sgpr_private_segment_size 0
		.amdhsa_uses_dynamic_stack 0
		.amdhsa_system_sgpr_private_segment_wavefront_offset 0
		.amdhsa_system_sgpr_workgroup_id_x 1
		.amdhsa_system_sgpr_workgroup_id_y 0
		.amdhsa_system_sgpr_workgroup_id_z 0
		.amdhsa_system_sgpr_workgroup_info 0
		.amdhsa_system_vgpr_workitem_id 0
		.amdhsa_next_free_vgpr 59
		.amdhsa_next_free_sgpr 28
		.amdhsa_reserve_vcc 1
		.amdhsa_reserve_flat_scratch 0
		.amdhsa_float_round_mode_32 0
		.amdhsa_float_round_mode_16_64 0
		.amdhsa_float_denorm_mode_32 3
		.amdhsa_float_denorm_mode_16_64 3
		.amdhsa_dx10_clamp 1
		.amdhsa_ieee_mode 1
		.amdhsa_fp16_overflow 0
		.amdhsa_exception_fp_ieee_invalid_op 0
		.amdhsa_exception_fp_denorm_src 0
		.amdhsa_exception_fp_ieee_div_zero 0
		.amdhsa_exception_fp_ieee_overflow 0
		.amdhsa_exception_fp_ieee_underflow 0
		.amdhsa_exception_fp_ieee_inexact 0
		.amdhsa_exception_int_div_zero 0
	.end_amdhsa_kernel
	.text
.Lfunc_end0:
	.size	fft_rtc_fwd_len810_factors_3_10_3_3_3_wgs_81_tpt_81_halfLds_sp_op_CI_CI_unitstride_sbrr_C2R_dirReg, .Lfunc_end0-fft_rtc_fwd_len810_factors_3_10_3_3_3_wgs_81_tpt_81_halfLds_sp_op_CI_CI_unitstride_sbrr_C2R_dirReg
                                        ; -- End function
	.section	.AMDGPU.csdata,"",@progbits
; Kernel info:
; codeLenInByte = 7476
; NumSgprs: 32
; NumVgprs: 59
; ScratchSize: 0
; MemoryBound: 0
; FloatMode: 240
; IeeeMode: 1
; LDSByteSize: 0 bytes/workgroup (compile time only)
; SGPRBlocks: 3
; VGPRBlocks: 14
; NumSGPRsForWavesPerEU: 32
; NumVGPRsForWavesPerEU: 59
; Occupancy: 4
; WaveLimiterHint : 1
; COMPUTE_PGM_RSRC2:SCRATCH_EN: 0
; COMPUTE_PGM_RSRC2:USER_SGPR: 6
; COMPUTE_PGM_RSRC2:TRAP_HANDLER: 0
; COMPUTE_PGM_RSRC2:TGID_X_EN: 1
; COMPUTE_PGM_RSRC2:TGID_Y_EN: 0
; COMPUTE_PGM_RSRC2:TGID_Z_EN: 0
; COMPUTE_PGM_RSRC2:TIDIG_COMP_CNT: 0
	.type	__hip_cuid_dfa2ce7ab5b94efa,@object ; @__hip_cuid_dfa2ce7ab5b94efa
	.section	.bss,"aw",@nobits
	.globl	__hip_cuid_dfa2ce7ab5b94efa
__hip_cuid_dfa2ce7ab5b94efa:
	.byte	0                               ; 0x0
	.size	__hip_cuid_dfa2ce7ab5b94efa, 1

	.ident	"AMD clang version 19.0.0git (https://github.com/RadeonOpenCompute/llvm-project roc-6.4.0 25133 c7fe45cf4b819c5991fe208aaa96edf142730f1d)"
	.section	".note.GNU-stack","",@progbits
	.addrsig
	.addrsig_sym __hip_cuid_dfa2ce7ab5b94efa
	.amdgpu_metadata
---
amdhsa.kernels:
  - .args:
      - .actual_access:  read_only
        .address_space:  global
        .offset:         0
        .size:           8
        .value_kind:     global_buffer
      - .offset:         8
        .size:           8
        .value_kind:     by_value
      - .actual_access:  read_only
        .address_space:  global
        .offset:         16
        .size:           8
        .value_kind:     global_buffer
      - .actual_access:  read_only
        .address_space:  global
        .offset:         24
        .size:           8
        .value_kind:     global_buffer
      - .actual_access:  read_only
        .address_space:  global
        .offset:         32
        .size:           8
        .value_kind:     global_buffer
      - .offset:         40
        .size:           8
        .value_kind:     by_value
      - .actual_access:  read_only
        .address_space:  global
        .offset:         48
        .size:           8
        .value_kind:     global_buffer
      - .actual_access:  read_only
        .address_space:  global
        .offset:         56
        .size:           8
        .value_kind:     global_buffer
      - .offset:         64
        .size:           4
        .value_kind:     by_value
      - .actual_access:  read_only
        .address_space:  global
        .offset:         72
        .size:           8
        .value_kind:     global_buffer
      - .actual_access:  read_only
        .address_space:  global
        .offset:         80
        .size:           8
        .value_kind:     global_buffer
      - .actual_access:  read_only
        .address_space:  global
        .offset:         88
        .size:           8
        .value_kind:     global_buffer
      - .actual_access:  write_only
        .address_space:  global
        .offset:         96
        .size:           8
        .value_kind:     global_buffer
    .group_segment_fixed_size: 0
    .kernarg_segment_align: 8
    .kernarg_segment_size: 104
    .language:       OpenCL C
    .language_version:
      - 2
      - 0
    .max_flat_workgroup_size: 81
    .name:           fft_rtc_fwd_len810_factors_3_10_3_3_3_wgs_81_tpt_81_halfLds_sp_op_CI_CI_unitstride_sbrr_C2R_dirReg
    .private_segment_fixed_size: 0
    .sgpr_count:     32
    .sgpr_spill_count: 0
    .symbol:         fft_rtc_fwd_len810_factors_3_10_3_3_3_wgs_81_tpt_81_halfLds_sp_op_CI_CI_unitstride_sbrr_C2R_dirReg.kd
    .uniform_work_group_size: 1
    .uses_dynamic_stack: false
    .vgpr_count:     59
    .vgpr_spill_count: 0
    .wavefront_size: 64
amdhsa.target:   amdgcn-amd-amdhsa--gfx906
amdhsa.version:
  - 1
  - 2
...

	.end_amdgpu_metadata
